;; amdgpu-corpus repo=ROCm/rocFFT kind=compiled arch=gfx906 opt=O3
	.text
	.amdgcn_target "amdgcn-amd-amdhsa--gfx906"
	.amdhsa_code_object_version 6
	.protected	bluestein_single_fwd_len270_dim1_dp_op_CI_CI ; -- Begin function bluestein_single_fwd_len270_dim1_dp_op_CI_CI
	.globl	bluestein_single_fwd_len270_dim1_dp_op_CI_CI
	.p2align	8
	.type	bluestein_single_fwd_len270_dim1_dp_op_CI_CI,@function
bluestein_single_fwd_len270_dim1_dp_op_CI_CI: ; @bluestein_single_fwd_len270_dim1_dp_op_CI_CI
; %bb.0:
	s_load_dwordx4 s[16:19], s[4:5], 0x28
	v_mul_u32_u24_e32 v1, 0x97c, v0
	v_lshrrev_b32_e32 v40, 16, v1
	v_lshl_add_u32 v184, s6, 2, v40
	v_mov_b32_e32 v185, 0
	s_waitcnt lgkmcnt(0)
	v_cmp_gt_u64_e32 vcc, s[16:17], v[184:185]
	s_and_saveexec_b64 s[0:1], vcc
	s_cbranch_execz .LBB0_26
; %bb.1:
	s_load_dwordx4 s[0:3], s[4:5], 0x18
	s_load_dwordx4 s[12:15], s[4:5], 0x0
	v_mul_lo_u16_e32 v1, 27, v40
	v_sub_u16_e32 v195, v0, v1
	v_lshlrev_b32_e32 v191, 4, v195
	s_waitcnt lgkmcnt(0)
	s_load_dwordx4 s[8:11], s[0:1], 0x0
	v_and_b32_e32 v40, 3, v40
	v_mul_u32_u24_e32 v40, 0x10e, v40
	v_lshlrev_b32_e32 v197, 4, v40
	v_add_u32_e32 v196, v197, v191
	s_waitcnt lgkmcnt(0)
	v_mad_u64_u32 v[0:1], s[0:1], s10, v184, 0
	v_mad_u64_u32 v[2:3], s[0:1], s8, v195, 0
	s_mov_b32 s17, 0xbfee6f0e
	s_mov_b32 s6, 0x372fe950
	v_mad_u64_u32 v[4:5], s[0:1], s11, v184, v[1:2]
	s_mov_b32 s7, 0x3fd3c6ef
	s_mov_b32 s20, 0x9b97f4a8
	v_mad_u64_u32 v[5:6], s[0:1], s9, v195, v[3:4]
	v_mov_b32_e32 v1, v4
	v_lshlrev_b64 v[0:1], 4, v[0:1]
	v_mov_b32_e32 v6, s19
	v_mov_b32_e32 v3, v5
	v_add_co_u32_e32 v4, vcc, s18, v0
	v_addc_co_u32_e32 v5, vcc, v6, v1, vcc
	v_lshlrev_b64 v[0:1], 4, v[2:3]
	s_mul_i32 s0, s9, 0x1b0
	v_add_co_u32_e32 v0, vcc, v4, v0
	s_mul_hi_u32 s1, s8, 0x1b0
	v_addc_co_u32_e32 v1, vcc, v5, v1, vcc
	s_add_i32 s0, s1, s0
	s_mul_i32 s1, s8, 0x1b0
	v_mov_b32_e32 v3, s0
	v_add_co_u32_e32 v2, vcc, s1, v0
	v_addc_co_u32_e32 v3, vcc, v1, v3, vcc
	global_load_dwordx4 v[41:44], v[0:1], off
	global_load_dwordx4 v[45:48], v[2:3], off
	global_load_dwordx4 v[36:39], v191, s[12:13]
	global_load_dwordx4 v[32:35], v191, s[12:13] offset:432
	v_mov_b32_e32 v0, s0
	v_add_co_u32_e32 v4, vcc, s1, v2
	v_addc_co_u32_e32 v5, vcc, v3, v0, vcc
	v_add_co_u32_e32 v6, vcc, s1, v4
	v_addc_co_u32_e32 v7, vcc, v5, v0, vcc
	global_load_dwordx4 v[49:52], v[4:5], off
	global_load_dwordx4 v[53:56], v[6:7], off
	global_load_dwordx4 v[28:31], v191, s[12:13] offset:864
	global_load_dwordx4 v[0:3], v191, s[12:13] offset:1296
	v_mov_b32_e32 v5, s0
	v_add_co_u32_e32 v4, vcc, s1, v6
	v_addc_co_u32_e32 v5, vcc, v7, v5, vcc
	v_mov_b32_e32 v6, s0
	v_add_co_u32_e32 v12, vcc, s1, v4
	global_load_dwordx4 v[57:60], v[4:5], off
	v_addc_co_u32_e32 v13, vcc, v5, v6, vcc
	global_load_dwordx4 v[61:64], v[12:13], off
	global_load_dwordx4 v[8:11], v191, s[12:13] offset:1728
	global_load_dwordx4 v[4:7], v191, s[12:13] offset:2160
	v_mov_b32_e32 v14, s0
	v_add_co_u32_e32 v12, vcc, s1, v12
	v_addc_co_u32_e32 v13, vcc, v13, v14, vcc
	v_add_co_u32_e32 v20, vcc, s1, v12
	v_addc_co_u32_e32 v21, vcc, v13, v14, vcc
	global_load_dwordx4 v[65:68], v[12:13], off
	global_load_dwordx4 v[69:72], v[20:21], off
	global_load_dwordx4 v[16:19], v191, s[12:13] offset:2592
	s_nop 0
	global_load_dwordx4 v[12:15], v191, s[12:13] offset:3024
	v_mov_b32_e32 v22, s0
	v_add_co_u32_e32 v20, vcc, s1, v20
	v_addc_co_u32_e32 v21, vcc, v21, v22, vcc
	global_load_dwordx4 v[73:76], v[20:21], off
	v_add_co_u32_e32 v81, vcc, s1, v20
	v_addc_co_u32_e32 v82, vcc, v21, v22, vcc
	global_load_dwordx4 v[20:23], v191, s[12:13] offset:3456
	global_load_dwordx4 v[24:27], v191, s[12:13] offset:3888
	global_load_dwordx4 v[77:80], v[81:82], off
	s_load_dwordx4 s[8:11], s[2:3], 0x0
	s_mov_b32 s0, 0x134454ff
	s_mov_b32 s1, 0x3fee6f0e
	;; [unrolled: 1-line block ×8, first 2 shown]
	s_load_dwordx2 s[4:5], s[4:5], 0x38
                                        ; implicit-def: $vgpr112_vgpr113
                                        ; implicit-def: $vgpr116_vgpr117
	s_waitcnt vmcnt(17)
	v_mul_f64 v[81:82], v[43:44], v[38:39]
	v_mul_f64 v[83:84], v[41:42], v[38:39]
	s_waitcnt vmcnt(16)
	v_mul_f64 v[85:86], v[47:48], v[34:35]
	v_mul_f64 v[87:88], v[45:46], v[34:35]
	v_fma_f64 v[40:41], v[41:42], v[36:37], v[81:82]
	v_fma_f64 v[42:43], v[43:44], v[36:37], -v[83:84]
	v_fma_f64 v[44:45], v[45:46], v[32:33], v[85:86]
	s_waitcnt vmcnt(12)
	v_mul_f64 v[81:82], v[53:54], v[2:3]
	v_mul_f64 v[89:90], v[51:52], v[30:31]
	;; [unrolled: 1-line block ×4, first 2 shown]
	v_fma_f64 v[46:47], v[47:48], v[32:33], -v[87:88]
	ds_write_b128 v196, v[40:43]
	ds_write_b128 v196, v[44:47] offset:432
	s_waitcnt vmcnt(9)
	v_mul_f64 v[83:84], v[59:60], v[10:11]
	v_mul_f64 v[85:86], v[57:58], v[10:11]
	s_waitcnt vmcnt(8)
	v_mul_f64 v[87:88], v[63:64], v[6:7]
	v_mul_f64 v[95:96], v[61:62], v[6:7]
	v_fma_f64 v[42:43], v[55:56], v[0:1], -v[81:82]
	v_fma_f64 v[48:49], v[49:50], v[28:29], v[89:90]
	v_fma_f64 v[50:51], v[51:52], v[28:29], -v[91:92]
	v_fma_f64 v[40:41], v[53:54], v[0:1], v[93:94]
	v_fma_f64 v[44:45], v[57:58], v[8:9], v[83:84]
	v_fma_f64 v[46:47], v[59:60], v[8:9], -v[85:86]
	s_waitcnt vmcnt(5)
	v_mul_f64 v[56:57], v[67:68], v[18:19]
	v_mul_f64 v[58:59], v[65:66], v[18:19]
	v_fma_f64 v[52:53], v[61:62], v[4:5], v[87:88]
	v_fma_f64 v[54:55], v[63:64], v[4:5], -v[95:96]
	s_waitcnt vmcnt(4)
	v_mul_f64 v[60:61], v[71:72], v[14:15]
	v_mul_f64 v[62:63], v[69:70], v[14:15]
	;; [unrolled: 5-line block ×3, first 2 shown]
	s_waitcnt vmcnt(0)
	v_mul_f64 v[85:86], v[79:80], v[26:27]
	v_mul_f64 v[87:88], v[77:78], v[26:27]
	v_fma_f64 v[60:61], v[69:70], v[12:13], v[60:61]
	v_fma_f64 v[62:63], v[71:72], v[12:13], -v[62:63]
	v_fma_f64 v[64:65], v[73:74], v[20:21], v[81:82]
	v_fma_f64 v[66:67], v[75:76], v[20:21], -v[83:84]
	;; [unrolled: 2-line block ×3, first 2 shown]
	ds_write_b128 v196, v[48:51] offset:864
	ds_write_b128 v196, v[40:43] offset:1296
	;; [unrolled: 1-line block ×8, first 2 shown]
	s_waitcnt lgkmcnt(0)
	s_barrier
	ds_read_b128 v[40:43], v196
	ds_read_b128 v[44:47], v196 offset:432
	ds_read_b128 v[48:51], v196 offset:864
	;; [unrolled: 1-line block ×6, first 2 shown]
	s_waitcnt lgkmcnt(4)
	v_add_f64 v[76:77], v[40:41], v[48:49]
	ds_read_b128 v[68:71], v196 offset:3024
	ds_read_b128 v[72:75], v196 offset:3456
	s_waitcnt lgkmcnt(4)
	v_add_f64 v[80:81], v[52:53], v[56:57]
	v_add_f64 v[88:89], v[54:55], -v[58:59]
	v_add_f64 v[90:91], v[48:49], -v[52:53]
	v_add_f64 v[96:97], v[42:43], v[50:51]
	s_waitcnt lgkmcnt(0)
	v_add_f64 v[94:95], v[48:49], v[72:73]
	v_add_f64 v[82:83], v[76:77], v[52:53]
	v_add_f64 v[84:85], v[50:51], -v[74:75]
	v_add_f64 v[92:93], v[72:73], -v[56:57]
	v_fma_f64 v[80:81], v[80:81], -0.5, v[40:41]
	v_add_f64 v[98:99], v[48:49], -v[72:73]
	v_add_f64 v[48:49], v[52:53], -v[48:49]
	ds_read_b128 v[76:79], v196 offset:3888
	v_fma_f64 v[40:41], v[94:95], -0.5, v[40:41]
	v_add_f64 v[82:83], v[82:83], v[56:57]
	v_add_f64 v[52:53], v[52:53], -v[56:57]
	v_add_f64 v[90:91], v[90:91], v[92:93]
	v_fma_f64 v[86:87], v[84:85], s[0:1], v[80:81]
	v_fma_f64 v[80:81], v[84:85], s[16:17], v[80:81]
	v_add_f64 v[92:93], v[54:55], v[58:59]
	v_add_f64 v[100:101], v[74:75], -v[58:59]
	v_fma_f64 v[94:95], v[88:89], s[16:17], v[40:41]
	v_add_f64 v[82:83], v[82:83], v[72:73]
	v_add_f64 v[72:73], v[56:57], -v[72:73]
	v_fma_f64 v[40:41], v[88:89], s[0:1], v[40:41]
	v_fma_f64 v[86:87], v[88:89], s[2:3], v[86:87]
	;; [unrolled: 1-line block ×3, first 2 shown]
	v_add_f64 v[88:89], v[96:97], v[54:55]
	v_fma_f64 v[92:93], v[92:93], -0.5, v[42:43]
	v_fma_f64 v[94:95], v[84:85], s[2:3], v[94:95]
	v_add_f64 v[56:57], v[50:51], -v[54:55]
	v_add_f64 v[48:49], v[48:49], v[72:73]
	v_add_f64 v[72:73], v[50:51], v[74:75]
	v_fma_f64 v[40:41], v[84:85], s[18:19], v[40:41]
	v_fma_f64 v[86:87], v[90:91], s[6:7], v[86:87]
	v_add_f64 v[84:85], v[88:89], v[58:59]
	v_add_f64 v[88:89], v[64:65], v[68:69]
	v_fma_f64 v[96:97], v[98:99], s[16:17], v[92:93]
	v_fma_f64 v[92:93], v[98:99], s[0:1], v[92:93]
	;; [unrolled: 1-line block ×3, first 2 shown]
	v_fma_f64 v[42:43], v[72:73], -0.5, v[42:43]
	v_fma_f64 v[72:73], v[48:49], s[6:7], v[40:41]
	v_add_f64 v[40:41], v[44:45], v[60:61]
	v_fma_f64 v[80:81], v[90:91], s[6:7], v[80:81]
	v_fma_f64 v[48:49], v[88:89], -0.5, v[44:45]
	s_waitcnt lgkmcnt(0)
	v_add_f64 v[88:89], v[62:63], -v[78:79]
	v_fma_f64 v[90:91], v[52:53], s[18:19], v[96:97]
	v_add_f64 v[56:57], v[56:57], v[100:101]
	v_add_f64 v[84:85], v[84:85], v[74:75]
	v_fma_f64 v[96:97], v[52:53], s[0:1], v[42:43]
	v_add_f64 v[40:41], v[40:41], v[64:65]
	v_add_f64 v[50:51], v[54:55], -v[50:51]
	v_add_f64 v[54:55], v[58:59], -v[74:75]
	v_fma_f64 v[42:43], v[52:53], s[16:17], v[42:43]
	v_fma_f64 v[58:59], v[88:89], s[0:1], v[48:49]
	v_add_f64 v[74:75], v[66:67], -v[70:71]
	v_add_f64 v[100:101], v[60:61], -v[64:65]
	v_add_f64 v[102:103], v[76:77], -v[68:69]
	v_fma_f64 v[52:53], v[52:53], s[2:3], v[92:93]
	v_add_f64 v[40:41], v[40:41], v[68:69]
	v_add_f64 v[92:93], v[60:61], v[76:77]
	v_fma_f64 v[96:97], v[98:99], s[18:19], v[96:97]
	v_add_f64 v[50:51], v[50:51], v[54:55]
	v_fma_f64 v[42:43], v[98:99], s[2:3], v[42:43]
	v_fma_f64 v[54:55], v[74:75], s[2:3], v[58:59]
	v_add_f64 v[58:59], v[100:101], v[102:103]
	v_fma_f64 v[98:99], v[56:57], s[6:7], v[52:53]
	v_add_f64 v[52:53], v[66:67], v[70:71]
	v_add_f64 v[100:101], v[40:41], v[76:77]
	;; [unrolled: 1-line block ×3, first 2 shown]
	v_fma_f64 v[44:45], v[92:93], -0.5, v[44:45]
	v_fma_f64 v[90:91], v[56:57], s[6:7], v[90:91]
	v_fma_f64 v[48:49], v[88:89], s[16:17], v[48:49]
	;; [unrolled: 1-line block ×5, first 2 shown]
	v_fma_f64 v[52:53], v[52:53], -0.5, v[46:47]
	v_add_f64 v[54:55], v[60:61], -v[76:77]
	v_add_f64 v[56:57], v[64:65], -v[60:61]
	;; [unrolled: 1-line block ×4, first 2 shown]
	v_fma_f64 v[40:41], v[40:41], -0.5, v[46:47]
	v_fma_f64 v[50:51], v[74:75], s[16:17], v[44:45]
	v_fma_f64 v[44:45], v[74:75], s[0:1], v[44:45]
	v_add_f64 v[46:47], v[46:47], v[62:63]
	v_fma_f64 v[48:49], v[74:75], s[18:19], v[48:49]
	v_fma_f64 v[68:69], v[54:55], s[16:17], v[52:53]
	v_add_f64 v[74:75], v[62:63], -v[66:67]
	v_add_f64 v[76:77], v[78:79], -v[70:71]
	v_add_f64 v[56:57], v[56:57], v[60:61]
	v_fma_f64 v[60:61], v[64:65], s[0:1], v[40:41]
	v_add_f64 v[62:63], v[66:67], -v[62:63]
	v_add_f64 v[102:103], v[70:71], -v[78:79]
	v_fma_f64 v[50:51], v[88:89], s[2:3], v[50:51]
	v_fma_f64 v[44:45], v[88:89], s[18:19], v[44:45]
	v_add_f64 v[46:47], v[46:47], v[66:67]
	v_fma_f64 v[52:53], v[54:55], s[0:1], v[52:53]
	v_fma_f64 v[40:41], v[64:65], s[16:17], v[40:41]
	;; [unrolled: 1-line block ×3, first 2 shown]
	v_add_f64 v[68:69], v[74:75], v[76:77]
	v_fma_f64 v[60:61], v[54:55], s[18:19], v[60:61]
	v_add_f64 v[62:63], v[62:63], v[102:103]
	v_fma_f64 v[50:51], v[56:57], s[6:7], v[50:51]
	v_fma_f64 v[56:57], v[56:57], s[6:7], v[44:45]
	v_add_f64 v[44:45], v[46:47], v[70:71]
	v_fma_f64 v[46:47], v[64:65], s[2:3], v[52:53]
	v_fma_f64 v[40:41], v[54:55], s[2:3], v[40:41]
	;; [unrolled: 1-line block ×5, first 2 shown]
	v_mul_f64 v[58:59], v[42:43], s[20:21]
	v_mul_f64 v[42:43], v[42:43], s[18:19]
	v_add_f64 v[66:67], v[44:45], v[78:79]
	v_fma_f64 v[44:45], v[68:69], s[6:7], v[46:47]
	v_fma_f64 v[46:47], v[62:63], s[6:7], v[40:41]
	v_mul_f64 v[62:63], v[56:57], s[6:7]
	v_mul_f64 v[64:65], v[48:49], s[20:21]
	;; [unrolled: 1-line block ×3, first 2 shown]
	v_fma_f64 v[68:69], v[52:53], s[2:3], v[58:59]
	v_mul_f64 v[58:59], v[50:51], s[16:17]
	v_fma_f64 v[88:89], v[52:53], s[20:21], v[42:43]
	v_mul_f64 v[74:75], v[44:45], s[20:21]
	v_mul_f64 v[70:71], v[46:47], s[6:7]
	v_fma_f64 v[62:63], v[46:47], s[0:1], -v[62:63]
	v_fma_f64 v[78:79], v[44:45], s[2:3], -v[64:65]
	v_fma_f64 v[76:77], v[50:51], s[6:7], v[60:61]
	v_add_f64 v[40:41], v[82:83], v[100:101]
	v_fma_f64 v[102:103], v[54:55], s[6:7], v[58:59]
	v_add_f64 v[42:43], v[84:85], v[66:67]
	v_fma_f64 v[74:75], v[48:49], s[18:19], -v[74:75]
	v_fma_f64 v[104:105], v[56:57], s[16:17], -v[70:71]
	v_add_f64 v[44:45], v[86:87], v[68:69]
	v_add_f64 v[46:47], v[90:91], v[88:89]
	;; [unrolled: 1-line block ×8, first 2 shown]
	v_add_f64 v[60:61], v[82:83], -v[100:101]
	v_add_f64 v[64:65], v[86:87], -v[68:69]
	;; [unrolled: 1-line block ×7, first 2 shown]
	v_mul_lo_u16_e32 v80, 10, v195
	v_add_f64 v[70:71], v[92:93], -v[102:103]
	v_add_f64 v[78:79], v[96:97], -v[104:105]
	v_lshl_add_u32 v199, v80, 4, v197
	v_add_f64 v[74:75], v[98:99], -v[74:75]
	s_barrier
	ds_write_b128 v199, v[40:43]
	ds_write_b128 v199, v[44:47] offset:16
	ds_write_b128 v199, v[48:51] offset:32
	;; [unrolled: 1-line block ×9, first 2 shown]
	s_waitcnt lgkmcnt(0)
	s_barrier
	ds_read_b128 v[80:83], v196
	ds_read_b128 v[84:87], v196 offset:432
	ds_read_b128 v[88:91], v196 offset:2880
	;; [unrolled: 1-line block ×8, first 2 shown]
	v_cmp_gt_u16_e64 s[0:1], 9, v195
	s_and_saveexec_b64 s[2:3], s[0:1]
	s_cbranch_execz .LBB0_3
; %bb.2:
	ds_read_b128 v[72:75], v196 offset:1296
	ds_read_b128 v[112:115], v196 offset:2736
	;; [unrolled: 1-line block ×3, first 2 shown]
.LBB0_3:
	s_or_b64 exec, exec, s[2:3]
	s_movk_i32 s6, 0xcd
	v_add_co_u32_e64 v185, s[2:3], 27, v195
	v_mul_lo_u16_sdwa v41, v185, s6 dst_sel:DWORD dst_unused:UNUSED_PAD src0_sel:BYTE_0 src1_sel:DWORD
	v_lshrrev_b16_e32 v154, 11, v41
	v_mul_lo_u16_e32 v41, 10, v154
	v_mul_lo_u16_sdwa v40, v195, s6 dst_sel:DWORD dst_unused:UNUSED_PAD src0_sel:BYTE_0 src1_sel:DWORD
	v_addc_co_u32_e64 v186, s[2:3], 0, 0, s[2:3]
	v_sub_u16_e32 v155, v185, v41
	v_mov_b32_e32 v41, 5
	v_lshrrev_b16_e32 v152, 11, v40
	v_lshlrev_b32_sdwa v42, v41, v155 dst_sel:DWORD dst_unused:UNUSED_PAD src0_sel:DWORD src1_sel:BYTE_0
	v_add_co_u32_e64 v187, s[2:3], 54, v195
	v_mul_lo_u16_e32 v40, 10, v152
	global_load_dwordx4 v[52:55], v42, s[14:15] offset:16
	global_load_dwordx4 v[56:59], v42, s[14:15]
	v_mul_lo_u16_sdwa v42, v187, s6 dst_sel:DWORD dst_unused:UNUSED_PAD src0_sel:BYTE_0 src1_sel:DWORD
	v_sub_u16_e32 v153, v195, v40
	v_lshrrev_b16_e32 v156, 11, v42
	v_lshlrev_b16_e32 v40, 1, v153
	v_mul_lo_u16_e32 v42, 10, v156
	v_and_b32_e32 v40, 0xfe, v40
	v_sub_u16_e32 v157, v187, v42
	v_lshlrev_b32_e32 v40, 4, v40
	v_lshlrev_b32_sdwa v41, v41, v157 dst_sel:DWORD dst_unused:UNUSED_PAD src0_sel:DWORD src1_sel:BYTE_0
	v_add_co_u32_e32 v192, vcc, 0x51, v195
	global_load_dwordx4 v[64:67], v40, s[14:15] offset:16
	global_load_dwordx4 v[68:71], v40, s[14:15]
	global_load_dwordx4 v[60:63], v41, s[14:15]
                                        ; kill: killed $vgpr40
	s_nop 0
	global_load_dwordx4 v[40:43], v41, s[14:15] offset:16
	v_mul_lo_u16_sdwa v44, v192, s6 dst_sel:DWORD dst_unused:UNUSED_PAD src0_sel:BYTE_0 src1_sel:DWORD
	v_lshrrev_b16_e32 v44, 11, v44
	v_mul_lo_u16_e32 v44, 10, v44
	v_sub_u16_e32 v198, v192, v44
	v_lshlrev_b16_e32 v44, 1, v198
	v_and_b32_e32 v44, 0xfe, v44
	v_lshlrev_b32_e32 v44, 4, v44
	global_load_dwordx4 v[48:51], v44, s[14:15]
	s_nop 0
	global_load_dwordx4 v[44:47], v44, s[14:15] offset:16
	v_addc_co_u32_e64 v188, s[2:3], 0, 0, s[2:3]
	s_mov_b32 s2, 0xe8584caa
	s_mov_b32 s3, 0x3febb67a
	;; [unrolled: 1-line block ×4, first 2 shown]
	v_addc_co_u32_e64 v193, s[16:17], 0, 0, vcc
	s_waitcnt vmcnt(0) lgkmcnt(0)
	s_barrier
	v_mul_f64 v[124:125], v[98:99], v[54:55]
	v_mul_f64 v[120:121], v[110:111], v[58:59]
	;; [unrolled: 1-line block ×4, first 2 shown]
	v_fma_f64 v[96:97], v[96:97], v[52:53], -v[124:125]
	v_mul_f64 v[140:141], v[90:91], v[66:67]
	v_mul_f64 v[136:137], v[94:95], v[70:71]
	;; [unrolled: 1-line block ×8, first 2 shown]
	v_fma_f64 v[108:109], v[108:109], v[56:57], -v[120:121]
	v_fma_f64 v[110:111], v[110:111], v[56:57], v[122:123]
	v_fma_f64 v[98:99], v[98:99], v[52:53], v[126:127]
	v_mul_f64 v[144:145], v[114:115], v[50:51]
	v_mul_f64 v[146:147], v[112:113], v[50:51]
	;; [unrolled: 1-line block ×4, first 2 shown]
	v_fma_f64 v[120:121], v[104:105], v[60:61], -v[128:129]
	v_fma_f64 v[124:125], v[100:101], v[40:41], -v[132:133]
	v_fma_f64 v[126:127], v[102:103], v[40:41], v[134:135]
	v_fma_f64 v[92:93], v[92:93], v[68:69], -v[136:137]
	v_fma_f64 v[94:95], v[94:95], v[68:69], v[138:139]
	;; [unrolled: 2-line block ×3, first 2 shown]
	v_fma_f64 v[122:123], v[106:107], v[60:61], v[130:131]
	v_fma_f64 v[128:129], v[112:113], v[48:49], -v[144:145]
	v_fma_f64 v[130:131], v[114:115], v[48:49], v[146:147]
	v_fma_f64 v[132:133], v[116:117], v[44:45], -v[148:149]
	v_fma_f64 v[134:135], v[118:119], v[44:45], v[150:151]
	v_add_f64 v[104:105], v[108:109], v[96:97]
	v_add_f64 v[106:107], v[110:111], -v[98:99]
	v_add_f64 v[90:91], v[86:87], v[110:111]
	v_add_f64 v[110:111], v[110:111], v[98:99]
	;; [unrolled: 1-line block ×4, first 2 shown]
	v_add_f64 v[140:141], v[94:95], -v[102:103]
	v_add_f64 v[142:143], v[82:83], v[94:95]
	v_add_f64 v[94:95], v[94:95], v[102:103]
	v_add_f64 v[88:89], v[84:85], v[108:109]
	v_add_f64 v[108:109], v[108:109], -v[96:97]
	v_add_f64 v[112:113], v[76:77], v[120:121]
	v_add_f64 v[116:117], v[122:123], -v[126:127]
	v_add_f64 v[136:137], v[122:123], v[126:127]
	v_add_f64 v[118:119], v[80:81], v[92:93]
	v_add_f64 v[144:145], v[92:93], -v[100:101]
	v_add_f64 v[146:147], v[128:129], v[132:133]
	v_add_f64 v[148:149], v[130:131], v[134:135]
	v_fma_f64 v[84:85], v[104:105], -0.5, v[84:85]
	v_fma_f64 v[86:87], v[110:111], -0.5, v[86:87]
	;; [unrolled: 1-line block ×5, first 2 shown]
	v_add_f64 v[88:89], v[88:89], v[96:97]
	v_add_f64 v[90:91], v[90:91], v[98:99]
	;; [unrolled: 1-line block ×5, first 2 shown]
	v_fma_f64 v[100:101], v[106:107], s[2:3], v[84:85]
	v_fma_f64 v[104:105], v[106:107], s[6:7], v[84:85]
	;; [unrolled: 1-line block ×10, first 2 shown]
	v_add_f64 v[80:81], v[78:79], v[122:123]
	v_fma_f64 v[82:83], v[136:137], -0.5, v[78:79]
	v_add_f64 v[84:85], v[120:121], -v[124:125]
	v_add_f64 v[86:87], v[72:73], v[128:129]
	v_fma_f64 v[72:73], v[146:147], -0.5, v[72:73]
	v_add_f64 v[120:121], v[130:131], -v[134:135]
	;; [unrolled: 3-line block ×3, first 2 shown]
	v_add_f64 v[94:95], v[80:81], v[126:127]
	v_fma_f64 v[78:79], v[84:85], s[6:7], v[82:83]
	v_fma_f64 v[110:111], v[84:85], s[2:3], v[82:83]
	v_add_f64 v[80:81], v[86:87], v[132:133]
	v_fma_f64 v[84:85], v[120:121], s[2:3], v[72:73]
	v_fma_f64 v[124:125], v[120:121], s[6:7], v[72:73]
	;; [unrolled: 3-line block ×3, first 2 shown]
	v_mad_legacy_u16 v72, v152, 30, v153
	v_and_b32_e32 v72, 0xff, v72
	v_lshl_add_u32 v202, v72, 4, v197
	v_mul_lo_u16_e32 v72, 30, v154
	v_and_b32_e32 v72, 0xfe, v72
	v_add_u32_sdwa v72, v72, v155 dst_sel:DWORD dst_unused:UNUSED_PAD src0_sel:DWORD src1_sel:BYTE_0
	v_lshl_add_u32 v203, v72, 4, v197
	v_mul_u32_u24_e32 v72, 30, v156
	v_add_u32_sdwa v72, v72, v157 dst_sel:DWORD dst_unused:UNUSED_PAD src0_sel:DWORD src1_sel:BYTE_0
	v_lshl_add_u32 v204, v72, 4, v197
	ds_write_b128 v202, v[96:99]
	ds_write_b128 v202, v[112:115] offset:160
	ds_write_b128 v202, v[116:119] offset:320
	ds_write_b128 v203, v[88:91]
	ds_write_b128 v203, v[100:103] offset:160
	ds_write_b128 v203, v[104:107] offset:320
	;; [unrolled: 3-line block ×3, first 2 shown]
	s_and_saveexec_b64 s[2:3], s[0:1]
	s_cbranch_execz .LBB0_5
; %bb.4:
	v_and_b32_e32 v72, 0xff, v198
	v_lshl_add_u32 v72, v72, 4, v197
	ds_write_b128 v72, v[80:83] offset:3840
	ds_write_b128 v72, v[84:87] offset:4000
	;; [unrolled: 1-line block ×3, first 2 shown]
.LBB0_5:
	s_or_b64 exec, exec, s[2:3]
	s_waitcnt lgkmcnt(0)
	s_barrier
	ds_read_b128 v[116:119], v196
	ds_read_b128 v[112:115], v196 offset:432
	ds_read_b128 v[136:139], v196 offset:2880
	;; [unrolled: 1-line block ×8, first 2 shown]
	s_and_saveexec_b64 s[2:3], s[0:1]
	s_cbranch_execz .LBB0_7
; %bb.6:
	ds_read_b128 v[80:83], v196 offset:1296
	ds_read_b128 v[84:87], v196 offset:2736
	;; [unrolled: 1-line block ×3, first 2 shown]
.LBB0_7:
	s_or_b64 exec, exec, s[2:3]
	v_add_co_u32_e32 v88, vcc, -3, v195
	v_addc_co_u32_e64 v89, s[2:3], 0, -1, vcc
	v_cmp_gt_u16_e32 vcc, 3, v195
	s_movk_i32 s2, 0x89
	v_cndmask_b32_e32 v154, v89, v186, vcc
	v_cndmask_b32_e32 v153, v88, v185, vcc
	v_mul_lo_u16_sdwa v96, v187, s2 dst_sel:DWORD dst_unused:UNUSED_PAD src0_sel:BYTE_0 src1_sel:DWORD
	v_lshlrev_b64 v[88:89], 5, v[153:154]
	v_lshrrev_b16_e32 v194, 12, v96
	v_mul_lo_u16_e32 v96, 30, v194
	v_mov_b32_e32 v156, s15
	v_add_co_u32_e32 v92, vcc, s14, v88
	v_sub_u16_e32 v201, v187, v96
	v_mov_b32_e32 v96, 5
	v_lshlrev_b32_e32 v155, 5, v195
	v_addc_co_u32_e32 v93, vcc, v156, v89, vcc
	v_lshlrev_b32_sdwa v100, v96, v201 dst_sel:DWORD dst_unused:UNUSED_PAD src0_sel:DWORD src1_sel:BYTE_0
	global_load_dwordx4 v[72:75], v155, s[14:15] offset:336
	global_load_dwordx4 v[76:79], v155, s[14:15] offset:320
	global_load_dwordx4 v[88:91], v[92:93], off offset:336
	s_nop 0
	global_load_dwordx4 v[92:95], v[92:93], off offset:320
	s_nop 0
	global_load_dwordx4 v[96:99], v100, s[14:15] offset:336
	s_nop 0
	global_load_dwordx4 v[100:103], v100, s[14:15] offset:320
	v_mul_lo_u16_sdwa v104, v192, s2 dst_sel:DWORD dst_unused:UNUSED_PAD src0_sel:BYTE_0 src1_sel:DWORD
	v_lshrrev_b16_e32 v104, 12, v104
	v_mul_lo_u16_e32 v104, 30, v104
	v_sub_u16_e32 v200, v192, v104
	v_and_b32_e32 v152, 0xff, v200
	v_lshlrev_b32_e32 v104, 5, v152
	global_load_dwordx4 v[108:111], v104, s[14:15] offset:320
	s_nop 0
	global_load_dwordx4 v[104:107], v104, s[14:15] offset:336
	v_add_co_u32_e32 v189, vcc, s14, v155
	v_addc_co_u32_e32 v190, vcc, 0, v156, vcc
	s_mov_b32 s2, 0xe8584caa
	s_mov_b32 s3, 0x3febb67a
	s_mov_b32 s6, s2
	s_waitcnt vmcnt(0) lgkmcnt(0)
	s_barrier
	v_cmp_lt_u16_e32 vcc, 2, v195
	v_mul_f64 v[158:159], v[138:139], v[74:75]
	v_mul_f64 v[154:155], v[150:151], v[78:79]
	;; [unrolled: 1-line block ×16, first 2 shown]
	v_fma_f64 v[148:149], v[148:149], v[76:77], -v[154:155]
	v_fma_f64 v[150:151], v[150:151], v[76:77], v[156:157]
	v_fma_f64 v[136:137], v[136:137], v[72:73], -v[158:159]
	v_fma_f64 v[138:139], v[138:139], v[72:73], v[160:161]
	v_fma_f64 v[140:141], v[140:141], v[100:101], -v[170:171]
	v_fma_f64 v[132:133], v[132:133], v[96:97], -v[174:175]
	;; [unrolled: 1-line block ×3, first 2 shown]
	v_fma_f64 v[146:147], v[146:147], v[92:93], v[164:165]
	v_fma_f64 v[128:129], v[128:129], v[88:89], -v[166:167]
	v_fma_f64 v[130:131], v[130:131], v[88:89], v[168:169]
	v_fma_f64 v[142:143], v[142:143], v[100:101], v[172:173]
	;; [unrolled: 1-line block ×3, first 2 shown]
	v_fma_f64 v[156:157], v[84:85], v[108:109], -v[178:179]
	v_fma_f64 v[158:159], v[86:87], v[108:109], v[180:181]
	v_fma_f64 v[160:161], v[124:125], v[104:105], -v[182:183]
	v_fma_f64 v[162:163], v[126:127], v[104:105], v[205:206]
	v_add_f64 v[84:85], v[116:117], v[148:149]
	v_add_f64 v[86:87], v[148:149], v[136:137]
	;; [unrolled: 1-line block ×5, first 2 shown]
	v_add_f64 v[124:125], v[150:151], -v[138:139]
	v_add_f64 v[148:149], v[148:149], -v[136:137]
	v_add_f64 v[164:165], v[144:145], v[128:129]
	v_add_f64 v[166:167], v[146:147], -v[130:131]
	v_add_f64 v[168:169], v[114:115], v[146:147]
	v_add_f64 v[146:147], v[146:147], v[130:131]
	v_add_f64 v[174:175], v[142:143], -v[154:155]
	v_add_f64 v[176:177], v[122:123], v[142:143]
	v_add_f64 v[142:143], v[142:143], v[154:155]
	;; [unrolled: 1-line block ×5, first 2 shown]
	v_fma_f64 v[136:137], v[86:87], -0.5, v[116:117]
	v_add_f64 v[86:87], v[126:127], v[138:139]
	v_fma_f64 v[126:127], v[134:135], -0.5, v[118:119]
	v_fma_f64 v[138:139], v[172:173], -0.5, v[120:121]
	v_add_f64 v[150:151], v[112:113], v[144:145]
	v_add_f64 v[144:145], v[144:145], -v[128:129]
	v_add_f64 v[170:171], v[120:121], v[140:141]
	v_add_f64 v[140:141], v[140:141], -v[132:133]
	;; [unrolled: 2-line block ×3, first 2 shown]
	v_fma_f64 v[134:135], v[164:165], -0.5, v[112:113]
	v_fma_f64 v[114:115], v[146:147], -0.5, v[114:115]
	;; [unrolled: 1-line block ×4, first 2 shown]
	v_fma_f64 v[122:123], v[148:149], s[6:7], v[126:127]
	v_fma_f64 v[126:127], v[148:149], s[2:3], v[126:127]
	v_fma_f64 v[80:81], v[174:175], s[2:3], v[138:139]
	v_fma_f64 v[148:149], v[174:175], s[6:7], v[138:139]
	v_add_f64 v[138:139], v[82:83], v[158:159]
	v_fma_f64 v[158:159], v[205:206], -0.5, v[82:83]
	v_add_f64 v[156:157], v[156:157], -v[160:161]
	v_fma_f64 v[120:121], v[124:125], s[2:3], v[136:137]
	v_fma_f64 v[124:125], v[124:125], s[6:7], v[136:137]
	v_add_f64 v[116:117], v[150:151], v[128:129]
	v_add_f64 v[118:119], v[168:169], v[130:131]
	;; [unrolled: 1-line block ×3, first 2 shown]
	v_fma_f64 v[128:129], v[166:167], s[2:3], v[134:135]
	v_fma_f64 v[132:133], v[166:167], s[6:7], v[134:135]
	;; [unrolled: 1-line block ×4, first 2 shown]
	v_add_f64 v[114:115], v[176:177], v[154:155]
	v_fma_f64 v[82:83], v[140:141], s[6:7], v[142:143]
	v_fma_f64 v[150:151], v[140:141], s[2:3], v[142:143]
	v_add_f64 v[144:145], v[178:179], v[160:161]
	v_fma_f64 v[136:137], v[182:183], s[2:3], v[146:147]
	v_fma_f64 v[140:141], v[182:183], s[6:7], v[146:147]
	;; [unrolled: 3-line block ×3, first 2 shown]
	ds_write_b128 v196, v[84:87]
	ds_write_b128 v196, v[120:123] offset:480
	ds_write_b128 v196, v[124:127] offset:960
	v_mov_b32_e32 v84, 0x5a
	v_cndmask_b32_e32 v84, 0, v84, vcc
	v_add_u32_e32 v84, v153, v84
	v_lshl_add_u32 v205, v84, 4, v197
	v_mul_u32_u24_e32 v84, 0x5a, v194
	v_add_u32_sdwa v84, v84, v201 dst_sel:DWORD dst_unused:UNUSED_PAD src0_sel:DWORD src1_sel:BYTE_0
	v_lshl_add_u32 v206, v84, 4, v197
	ds_write_b128 v205, v[116:119]
	ds_write_b128 v205, v[128:131] offset:480
	ds_write_b128 v205, v[132:135] offset:960
	ds_write_b128 v206, v[112:115]
	ds_write_b128 v206, v[80:83] offset:480
	ds_write_b128 v206, v[148:151] offset:960
	s_and_saveexec_b64 s[2:3], s[0:1]
	s_cbranch_execz .LBB0_9
; %bb.8:
	v_lshl_add_u32 v80, v152, 4, v197
	ds_write_b128 v80, v[144:147] offset:2880
	ds_write_b128 v80, v[136:139] offset:3360
	;; [unrolled: 1-line block ×3, first 2 shown]
.LBB0_9:
	s_or_b64 exec, exec, s[2:3]
	s_waitcnt lgkmcnt(0)
	s_barrier
	ds_read_b128 v[152:155], v196
	ds_read_b128 v[148:151], v196 offset:432
	ds_read_b128 v[168:171], v196 offset:2880
	;; [unrolled: 1-line block ×8, first 2 shown]
	s_and_saveexec_b64 s[2:3], s[0:1]
	s_cbranch_execz .LBB0_11
; %bb.10:
	ds_read_b128 v[144:147], v196 offset:1296
	ds_read_b128 v[136:139], v196 offset:2736
	;; [unrolled: 1-line block ×3, first 2 shown]
.LBB0_11:
	s_or_b64 exec, exec, s[2:3]
	v_lshlrev_b64 v[80:81], 5, v[185:186]
	v_mov_b32_e32 v82, s15
	v_add_co_u32_e32 v80, vcc, s14, v80
	v_addc_co_u32_e32 v81, vcc, v82, v81, vcc
	global_load_dwordx4 v[112:115], v[189:190], off offset:1296
	global_load_dwordx4 v[116:119], v[189:190], off offset:1280
	;; [unrolled: 1-line block ×4, first 2 shown]
	v_lshlrev_b64 v[80:81], 5, v[187:188]
	v_lshl_add_u32 v201, v195, 4, v197
	v_add_co_u32_e32 v80, vcc, s14, v80
	v_addc_co_u32_e32 v81, vcc, v82, v81, vcc
	global_load_dwordx4 v[124:127], v[80:81], off offset:1296
	global_load_dwordx4 v[132:135], v[80:81], off offset:1280
	v_add_co_u32_e32 v80, vcc, -9, v195
	v_addc_co_u32_e64 v81, s[2:3], 0, -1, vcc
	v_cndmask_b32_e64 v81, v81, v193, s[0:1]
	v_cndmask_b32_e64 v80, v80, v192, s[0:1]
	v_lshlrev_b64 v[80:81], 5, v[80:81]
	s_mov_b32 s2, 0xe8584caa
	v_add_co_u32_e32 v80, vcc, s14, v80
	v_addc_co_u32_e32 v81, vcc, v82, v81, vcc
	global_load_dwordx4 v[84:87], v[80:81], off offset:1280
	s_nop 0
	global_load_dwordx4 v[80:83], v[80:81], off offset:1296
	s_mov_b32 s3, 0x3febb67a
	s_mov_b32 s6, s2
	s_waitcnt vmcnt(7) lgkmcnt(6)
	v_mul_f64 v[189:190], v[170:171], v[114:115]
	s_waitcnt vmcnt(6) lgkmcnt(4)
	v_mul_f64 v[185:186], v[182:183], v[118:119]
	v_mul_f64 v[187:188], v[180:181], v[118:119]
	;; [unrolled: 1-line block ×3, first 2 shown]
	s_waitcnt vmcnt(4) lgkmcnt(2)
	v_mul_f64 v[207:208], v[178:179], v[130:131]
	v_mul_f64 v[209:210], v[176:177], v[130:131]
	;; [unrolled: 1-line block ×4, first 2 shown]
	s_waitcnt vmcnt(3) lgkmcnt(0)
	v_mul_f64 v[219:220], v[166:167], v[126:127]
	s_waitcnt vmcnt(2)
	v_mul_f64 v[215:216], v[174:175], v[134:135]
	v_mul_f64 v[217:218], v[172:173], v[134:135]
	;; [unrolled: 1-line block ×3, first 2 shown]
	v_fma_f64 v[180:181], v[180:181], v[116:117], -v[185:186]
	v_fma_f64 v[182:183], v[182:183], v[116:117], v[187:188]
	v_fma_f64 v[168:169], v[168:169], v[112:113], -v[189:190]
	v_fma_f64 v[170:171], v[170:171], v[112:113], v[192:193]
	;; [unrolled: 2-line block ×4, first 2 shown]
	v_fma_f64 v[172:173], v[172:173], v[132:133], -v[215:216]
	s_waitcnt vmcnt(1)
	v_mul_f64 v[223:224], v[138:139], v[86:87]
	v_mul_f64 v[225:226], v[136:137], v[86:87]
	s_waitcnt vmcnt(0)
	v_mul_f64 v[227:228], v[142:143], v[82:83]
	v_mul_f64 v[229:230], v[140:141], v[82:83]
	v_fma_f64 v[174:175], v[174:175], v[132:133], v[217:218]
	v_fma_f64 v[189:190], v[164:165], v[124:125], -v[219:220]
	v_fma_f64 v[192:193], v[166:167], v[124:125], v[221:222]
	v_add_f64 v[207:208], v[148:149], v[176:177]
	v_fma_f64 v[160:161], v[136:137], v[84:85], -v[223:224]
	v_fma_f64 v[166:167], v[138:139], v[84:85], v[225:226]
	v_fma_f64 v[162:163], v[140:141], v[80:81], -v[227:228]
	v_fma_f64 v[164:165], v[142:143], v[80:81], v[229:230]
	v_add_f64 v[136:137], v[152:153], v[180:181]
	v_add_f64 v[138:139], v[180:181], v[168:169]
	v_add_f64 v[140:141], v[182:183], -v[170:171]
	v_add_f64 v[142:143], v[154:155], v[182:183]
	v_add_f64 v[182:183], v[182:183], v[170:171]
	;; [unrolled: 1-line block ×3, first 2 shown]
	v_add_f64 v[211:212], v[178:179], -v[187:188]
	v_add_f64 v[213:214], v[150:151], v[178:179]
	v_add_f64 v[178:179], v[178:179], v[187:188]
	v_add_f64 v[215:216], v[176:177], -v[185:186]
	v_add_f64 v[176:177], v[156:157], v[172:173]
	v_add_f64 v[217:218], v[172:173], v[189:190]
	;; [unrolled: 1-line block ×3, first 2 shown]
	v_add_f64 v[223:224], v[172:173], -v[189:190]
	v_add_f64 v[172:173], v[160:161], v[162:163]
	v_add_f64 v[227:228], v[166:167], v[164:165]
	v_add_f64 v[219:220], v[174:175], -v[192:193]
	v_add_f64 v[174:175], v[174:175], v[192:193]
	v_add_f64 v[180:181], v[180:181], -v[168:169]
	v_add_f64 v[225:226], v[166:167], -v[164:165]
	;; [unrolled: 1-line block ×3, first 2 shown]
	v_add_f64 v[136:137], v[136:137], v[168:169]
	v_fma_f64 v[168:169], v[138:139], -0.5, v[152:153]
	v_add_f64 v[138:139], v[142:143], v[170:171]
	v_fma_f64 v[142:143], v[182:183], -0.5, v[154:155]
	v_fma_f64 v[182:183], v[209:210], -0.5, v[148:149]
	;; [unrolled: 1-line block ×3, first 2 shown]
	v_add_f64 v[148:149], v[176:177], v[189:190]
	v_add_f64 v[150:151], v[221:222], v[192:193]
	v_fma_f64 v[189:190], v[172:173], -0.5, v[144:145]
	v_fma_f64 v[192:193], v[227:228], -0.5, v[146:147]
	v_add_f64 v[152:153], v[207:208], v[185:186]
	v_add_f64 v[154:155], v[213:214], v[187:188]
	v_fma_f64 v[185:186], v[217:218], -0.5, v[156:157]
	v_fma_f64 v[187:188], v[174:175], -0.5, v[158:159]
	v_fma_f64 v[156:157], v[140:141], s[2:3], v[168:169]
	v_fma_f64 v[168:169], v[140:141], s[6:7], v[168:169]
	;; [unrolled: 1-line block ×4, first 2 shown]
	ds_write_b128 v196, v[136:139]
	v_fma_f64 v[136:137], v[225:226], s[2:3], v[189:190]
	v_fma_f64 v[140:141], v[225:226], s[6:7], v[189:190]
	;; [unrolled: 1-line block ×12, first 2 shown]
	ds_write_b128 v201, v[156:159] offset:1440
	ds_write_b128 v201, v[168:171] offset:2880
	;; [unrolled: 1-line block ×8, first 2 shown]
	s_and_saveexec_b64 s[2:3], s[0:1]
	s_cbranch_execz .LBB0_13
; %bb.12:
	v_add_f64 v[146:147], v[146:147], v[166:167]
	v_add_f64 v[144:145], v[144:145], v[160:161]
	;; [unrolled: 1-line block ×4, first 2 shown]
	ds_write_b128 v196, v[144:147] offset:1296
	ds_write_b128 v201, v[136:139] offset:2736
	;; [unrolled: 1-line block ×3, first 2 shown]
.LBB0_13:
	s_or_b64 exec, exec, s[2:3]
	v_add_co_u32_e32 v148, vcc, s12, v191
	v_mov_b32_e32 v144, s13
	v_addc_co_u32_e32 v149, vcc, 0, v144, vcc
	s_movk_i32 s2, 0x10e0
	v_add_co_u32_e32 v156, vcc, s2, v148
	v_addc_co_u32_e32 v157, vcc, 0, v149, vcc
	s_movk_i32 s2, 0x1000
	v_add_co_u32_e32 v148, vcc, s2, v148
	v_addc_co_u32_e32 v149, vcc, 0, v149, vcc
	s_waitcnt lgkmcnt(0)
	s_barrier
	global_load_dwordx4 v[148:151], v[148:149], off offset:224
	ds_read_b128 v[144:147], v196
	s_mov_b32 s2, 0x134454ff
	s_mov_b32 s3, 0xbfee6f0e
	;; [unrolled: 1-line block ×12, first 2 shown]
	s_waitcnt vmcnt(0) lgkmcnt(0)
	v_mul_f64 v[152:153], v[146:147], v[150:151]
	v_fma_f64 v[152:153], v[144:145], v[148:149], -v[152:153]
	v_mul_f64 v[144:145], v[144:145], v[150:151]
	v_fma_f64 v[154:155], v[146:147], v[148:149], v[144:145]
	global_load_dwordx4 v[148:151], v[156:157], off offset:432
	ds_read_b128 v[144:147], v196 offset:432
	ds_write_b128 v196, v[152:155]
	s_waitcnt vmcnt(0) lgkmcnt(1)
	v_mul_f64 v[152:153], v[146:147], v[150:151]
	v_fma_f64 v[152:153], v[144:145], v[148:149], -v[152:153]
	v_mul_f64 v[144:145], v[144:145], v[150:151]
	v_fma_f64 v[154:155], v[146:147], v[148:149], v[144:145]
	global_load_dwordx4 v[148:151], v[156:157], off offset:864
	ds_read_b128 v[144:147], v196 offset:864
	ds_write_b128 v196, v[152:155] offset:432
	s_waitcnt vmcnt(0) lgkmcnt(1)
	v_mul_f64 v[152:153], v[146:147], v[150:151]
	v_fma_f64 v[152:153], v[144:145], v[148:149], -v[152:153]
	v_mul_f64 v[144:145], v[144:145], v[150:151]
	v_fma_f64 v[154:155], v[146:147], v[148:149], v[144:145]
	global_load_dwordx4 v[148:151], v[156:157], off offset:1296
	ds_read_b128 v[144:147], v201 offset:1296
	ds_write_b128 v196, v[152:155] offset:864
	;; [unrolled: 8-line block ×8, first 2 shown]
	s_waitcnt vmcnt(0) lgkmcnt(1)
	v_mul_f64 v[152:153], v[146:147], v[150:151]
	v_fma_f64 v[152:153], v[144:145], v[148:149], -v[152:153]
	v_mul_f64 v[144:145], v[144:145], v[150:151]
	v_fma_f64 v[154:155], v[146:147], v[148:149], v[144:145]
	ds_write_b128 v196, v[152:155] offset:3888
	s_waitcnt lgkmcnt(0)
	s_barrier
	ds_read_b128 v[168:171], v196
	ds_read_b128 v[160:163], v196 offset:432
	ds_read_b128 v[164:167], v196 offset:864
	;; [unrolled: 1-line block ×9, first 2 shown]
	s_waitcnt lgkmcnt(5)
	v_add_f64 v[191:192], v[164:165], -v[172:173]
	s_waitcnt lgkmcnt(3)
	v_add_f64 v[187:188], v[172:173], v[176:177]
	v_add_f64 v[207:208], v[174:175], -v[178:179]
	s_waitcnt lgkmcnt(1)
	v_add_f64 v[193:194], v[166:167], -v[182:183]
	v_add_f64 v[209:210], v[180:181], -v[176:177]
	v_add_f64 v[185:186], v[168:169], v[164:165]
	v_add_f64 v[211:212], v[176:177], -v[180:181]
	s_waitcnt lgkmcnt(0)
	s_barrier
	v_fma_f64 v[189:190], v[187:188], -0.5, v[168:169]
	v_add_f64 v[191:192], v[191:192], v[209:210]
	v_add_f64 v[185:186], v[185:186], v[172:173]
	v_add_f64 v[209:210], v[172:173], -v[164:165]
	v_fma_f64 v[187:188], v[193:194], s[2:3], v[189:190]
	v_fma_f64 v[189:190], v[193:194], s[16:17], v[189:190]
	v_add_f64 v[185:186], v[185:186], v[176:177]
	v_add_f64 v[209:210], v[209:210], v[211:212]
	v_add_f64 v[176:177], v[172:173], -v[176:177]
	v_add_f64 v[172:173], v[166:167], -v[174:175]
	v_fma_f64 v[187:188], v[207:208], s[12:13], v[187:188]
	v_fma_f64 v[189:190], v[207:208], s[14:15], v[189:190]
	v_add_f64 v[211:212], v[152:153], -v[156:157]
	v_add_f64 v[185:186], v[185:186], v[180:181]
	v_fma_f64 v[187:188], v[191:192], s[6:7], v[187:188]
	v_fma_f64 v[189:190], v[191:192], s[6:7], v[189:190]
	v_add_f64 v[191:192], v[164:165], v[180:181]
	v_add_f64 v[180:181], v[164:165], -v[180:181]
	v_fma_f64 v[168:169], v[191:192], -0.5, v[168:169]
	v_fma_f64 v[191:192], v[207:208], s[16:17], v[168:169]
	v_fma_f64 v[168:169], v[207:208], s[2:3], v[168:169]
	v_add_f64 v[207:208], v[174:175], v[178:179]
	v_fma_f64 v[191:192], v[193:194], s[12:13], v[191:192]
	v_fma_f64 v[168:169], v[193:194], s[14:15], v[168:169]
	v_fma_f64 v[207:208], v[207:208], -0.5, v[170:171]
	v_fma_f64 v[191:192], v[209:210], s[6:7], v[191:192]
	v_fma_f64 v[193:194], v[209:210], s[6:7], v[168:169]
	;; [unrolled: 1-line block ×3, first 2 shown]
	v_add_f64 v[209:210], v[182:183], -v[178:179]
	v_fma_f64 v[207:208], v[180:181], s[2:3], v[207:208]
	v_add_f64 v[168:169], v[170:171], v[166:167]
	v_fma_f64 v[164:165], v[176:177], s[14:15], v[164:165]
	v_add_f64 v[172:173], v[172:173], v[209:210]
	;; [unrolled: 2-line block ×3, first 2 shown]
	v_add_f64 v[209:210], v[156:157], -v[152:153]
	v_fma_f64 v[164:165], v[172:173], s[6:7], v[164:165]
	v_fma_f64 v[172:173], v[172:173], s[6:7], v[207:208]
	v_add_f64 v[207:208], v[166:167], v[182:183]
	v_add_f64 v[166:167], v[174:175], -v[166:167]
	v_add_f64 v[174:175], v[178:179], -v[182:183]
	v_add_f64 v[168:169], v[168:169], v[178:179]
	v_add_f64 v[178:179], v[146:147], -v[158:159]
	v_fma_f64 v[170:171], v[207:208], -0.5, v[170:171]
	v_add_f64 v[174:175], v[166:167], v[174:175]
	v_add_f64 v[168:169], v[168:169], v[182:183]
	v_add_f64 v[182:183], v[150:151], -v[154:155]
	v_fma_f64 v[207:208], v[176:177], s[2:3], v[170:171]
	v_fma_f64 v[170:171], v[176:177], s[16:17], v[170:171]
	v_add_f64 v[176:177], v[148:149], v[152:153]
	v_fma_f64 v[207:208], v[180:181], s[14:15], v[207:208]
	v_fma_f64 v[170:171], v[180:181], s[12:13], v[170:171]
	v_fma_f64 v[176:177], v[176:177], -0.5, v[160:161]
	v_fma_f64 v[166:167], v[174:175], s[6:7], v[207:208]
	v_add_f64 v[207:208], v[144:145], -v[148:149]
	v_fma_f64 v[180:181], v[178:179], s[2:3], v[176:177]
	v_fma_f64 v[176:177], v[178:179], s[16:17], v[176:177]
	;; [unrolled: 1-line block ×3, first 2 shown]
	v_add_f64 v[174:175], v[160:161], v[144:145]
	v_add_f64 v[207:208], v[207:208], v[209:210]
	v_fma_f64 v[180:181], v[182:183], s[12:13], v[180:181]
	v_fma_f64 v[176:177], v[182:183], s[14:15], v[176:177]
	v_add_f64 v[209:210], v[148:149], -v[144:145]
	v_add_f64 v[174:175], v[174:175], v[148:149]
	v_add_f64 v[148:149], v[148:149], -v[152:153]
	v_fma_f64 v[180:181], v[207:208], s[6:7], v[180:181]
	v_fma_f64 v[207:208], v[207:208], s[6:7], v[176:177]
	v_add_f64 v[176:177], v[144:145], v[156:157]
	v_add_f64 v[209:210], v[209:210], v[211:212]
	;; [unrolled: 1-line block ×3, first 2 shown]
	v_add_f64 v[144:145], v[144:145], -v[156:157]
	v_fma_f64 v[160:161], v[176:177], -0.5, v[160:161]
	v_add_f64 v[174:175], v[174:175], v[156:157]
	v_fma_f64 v[176:177], v[182:183], s[16:17], v[160:161]
	v_fma_f64 v[160:161], v[182:183], s[2:3], v[160:161]
	;; [unrolled: 1-line block ×6, first 2 shown]
	v_add_f64 v[160:161], v[162:163], v[146:147]
	v_add_f64 v[176:177], v[158:159], -v[154:155]
	v_add_f64 v[160:161], v[160:161], v[150:151]
	v_add_f64 v[160:161], v[160:161], v[154:155]
	;; [unrolled: 1-line block ×4, first 2 shown]
	v_fma_f64 v[160:161], v[160:161], -0.5, v[162:163]
	v_fma_f64 v[156:157], v[144:145], s[16:17], v[160:161]
	v_fma_f64 v[152:153], v[148:149], s[14:15], v[156:157]
	v_add_f64 v[156:157], v[146:147], -v[150:151]
	v_add_f64 v[156:157], v[156:157], v[176:177]
	v_fma_f64 v[209:210], v[156:157], s[6:7], v[152:153]
	v_fma_f64 v[152:153], v[144:145], s[2:3], v[160:161]
	;; [unrolled: 1-line block ×4, first 2 shown]
	v_add_f64 v[152:153], v[146:147], v[158:159]
	v_add_f64 v[146:147], v[150:151], -v[146:147]
	v_add_f64 v[150:151], v[154:155], -v[158:159]
	v_mul_f64 v[154:155], v[180:181], s[14:15]
	v_fma_f64 v[152:153], v[152:153], -0.5, v[162:163]
	v_add_f64 v[146:147], v[146:147], v[150:151]
	v_fma_f64 v[156:157], v[148:149], s[2:3], v[152:153]
	v_fma_f64 v[148:149], v[148:149], s[16:17], v[152:153]
	;; [unrolled: 1-line block ×4, first 2 shown]
	v_add_f64 v[148:149], v[185:186], v[174:175]
	v_fma_f64 v[158:159], v[146:147], s[6:7], v[156:157]
	v_fma_f64 v[144:145], v[146:147], s[6:7], v[144:145]
	v_mul_f64 v[146:147], v[209:210], s[12:13]
	v_fma_f64 v[209:210], v[209:210], s[18:19], v[154:155]
	v_mul_f64 v[150:151], v[158:159], s[2:3]
	v_mul_f64 v[158:159], v[158:159], s[6:7]
	v_fma_f64 v[146:147], v[180:181], s[18:19], v[146:147]
	v_add_f64 v[154:155], v[164:165], v[209:210]
	v_add_f64 v[180:181], v[185:186], -v[174:175]
	v_fma_f64 v[215:216], v[211:212], s[6:7], v[150:151]
	v_mul_f64 v[150:151], v[144:145], s[2:3]
	s_mov_b32 s3, 0xbfd3c6ef
	s_mov_b32 s2, s6
	v_mul_f64 v[144:145], v[144:145], s[2:3]
	v_fma_f64 v[211:212], v[211:212], s[16:17], v[158:159]
	v_add_f64 v[152:153], v[187:188], v[146:147]
	v_add_f64 v[185:186], v[187:188], -v[146:147]
	v_add_f64 v[156:157], v[191:192], v[215:216]
	v_fma_f64 v[217:218], v[178:179], s[2:3], v[150:151]
	v_mul_f64 v[150:151], v[213:214], s[12:13]
	s_mov_b32 s13, 0xbfe9e377
	s_mov_b32 s12, s18
	v_fma_f64 v[221:222], v[178:179], s[16:17], v[144:145]
	v_mul_f64 v[144:145], v[213:214], s[12:13]
	v_add_f64 v[158:159], v[166:167], v[211:212]
	v_add_f64 v[187:188], v[164:165], -v[209:210]
	v_add_f64 v[160:161], v[193:194], v[217:218]
	v_fma_f64 v[219:220], v[207:208], s[12:13], v[150:151]
	v_add_f64 v[150:151], v[168:169], v[182:183]
	v_add_f64 v[182:183], v[168:169], -v[182:183]
	v_add_f64 v[162:163], v[170:171], v[221:222]
	v_fma_f64 v[213:214], v[207:208], s[14:15], v[144:145]
	v_add_f64 v[191:192], v[191:192], -v[215:216]
	v_add_f64 v[207:208], v[193:194], -v[217:218]
	;; [unrolled: 1-line block ×3, first 2 shown]
	v_add_f64 v[176:177], v[189:190], v[219:220]
	v_add_f64 v[144:145], v[189:190], -v[219:220]
	v_add_f64 v[209:210], v[170:171], -v[221:222]
	v_add_f64 v[178:179], v[172:173], v[213:214]
	v_add_f64 v[146:147], v[172:173], -v[213:214]
	ds_write_b128 v199, v[148:151]
	ds_write_b128 v199, v[152:155] offset:16
	ds_write_b128 v199, v[156:159] offset:32
	;; [unrolled: 1-line block ×9, first 2 shown]
	s_waitcnt lgkmcnt(0)
	s_barrier
	ds_read_b128 v[156:159], v196
	ds_read_b128 v[176:179], v196 offset:1440
	ds_read_b128 v[164:167], v196 offset:2880
	;; [unrolled: 1-line block ×8, first 2 shown]
	s_and_saveexec_b64 s[2:3], s[0:1]
	s_cbranch_execz .LBB0_15
; %bb.14:
	ds_read_b128 v[144:147], v201 offset:1296
	ds_read_b128 v[136:139], v196 offset:2736
	ds_read_b128 v[140:143], v196 offset:4176
.LBB0_15:
	s_or_b64 exec, exec, s[2:3]
	s_waitcnt lgkmcnt(7)
	v_mul_f64 v[185:186], v[70:71], v[178:179]
	v_mul_f64 v[70:71], v[70:71], v[176:177]
	s_waitcnt lgkmcnt(6)
	v_mul_f64 v[187:188], v[66:67], v[166:167]
	v_mul_f64 v[66:67], v[66:67], v[164:165]
	;; [unrolled: 3-line block ×4, first 2 shown]
	v_fma_f64 v[176:177], v[68:69], v[176:177], v[185:186]
	v_fma_f64 v[68:69], v[68:69], v[178:179], -v[70:71]
	v_fma_f64 v[70:71], v[64:65], v[164:165], v[187:188]
	s_waitcnt lgkmcnt(1)
	v_mul_f64 v[164:165], v[62:63], v[182:183]
	v_fma_f64 v[64:65], v[64:65], v[166:167], -v[66:67]
	v_mul_f64 v[62:63], v[62:63], v[180:181]
	s_waitcnt lgkmcnt(0)
	v_mul_f64 v[166:167], v[42:43], v[162:163]
	v_mul_f64 v[42:43], v[42:43], v[160:161]
	v_fma_f64 v[66:67], v[56:57], v[168:169], v[189:190]
	v_fma_f64 v[56:57], v[56:57], v[170:171], -v[58:59]
	v_fma_f64 v[58:59], v[52:53], v[172:173], v[191:192]
	v_fma_f64 v[168:169], v[52:53], v[174:175], -v[54:55]
	;; [unrolled: 2-line block ×3, first 2 shown]
	v_mul_f64 v[52:53], v[50:51], v[138:139]
	v_mul_f64 v[50:51], v[50:51], v[136:137]
	v_add_f64 v[54:55], v[176:177], v[70:71]
	v_fma_f64 v[160:161], v[40:41], v[160:161], v[166:167]
	v_mul_f64 v[60:61], v[46:47], v[142:143]
	v_mul_f64 v[46:47], v[46:47], v[140:141]
	v_fma_f64 v[40:41], v[40:41], v[162:163], -v[42:43]
	v_add_f64 v[42:43], v[156:157], v[176:177]
	v_fma_f64 v[162:163], v[48:49], v[136:137], v[52:53]
	v_fma_f64 v[48:49], v[48:49], v[138:139], -v[50:51]
	v_fma_f64 v[50:51], v[54:55], -0.5, v[156:157]
	v_add_f64 v[54:55], v[68:69], -v[64:65]
	v_fma_f64 v[156:157], v[44:45], v[140:141], v[60:61]
	v_fma_f64 v[166:167], v[44:45], v[142:143], -v[46:47]
	v_add_f64 v[46:47], v[68:69], v[64:65]
	v_add_f64 v[44:45], v[42:43], v[70:71]
	;; [unrolled: 1-line block ×3, first 2 shown]
	s_mov_b32 s2, 0xe8584caa
	s_mov_b32 s3, 0xbfebb67a
	;; [unrolled: 1-line block ×4, first 2 shown]
	v_fma_f64 v[52:53], v[54:55], s[2:3], v[50:51]
	v_add_f64 v[62:63], v[66:67], v[58:59]
	v_fma_f64 v[68:69], v[46:47], -0.5, v[158:159]
	v_fma_f64 v[60:61], v[54:55], s[6:7], v[50:51]
	v_add_f64 v[46:47], v[42:43], v[64:65]
	v_add_f64 v[42:43], v[56:57], v[168:169]
	;; [unrolled: 1-line block ×3, first 2 shown]
	v_add_f64 v[70:71], v[176:177], -v[70:71]
	v_add_f64 v[138:139], v[56:57], -v[168:169]
	v_fma_f64 v[136:137], v[62:63], -0.5, v[152:153]
	v_add_f64 v[140:141], v[164:165], v[160:161]
	v_add_f64 v[56:57], v[154:155], v[56:57]
	v_add_f64 v[142:143], v[66:67], -v[58:59]
	v_fma_f64 v[42:43], v[42:43], -0.5, v[154:155]
	v_add_f64 v[64:65], v[50:51], v[58:59]
	v_add_f64 v[50:51], v[148:149], v[164:165]
	v_fma_f64 v[54:55], v[70:71], s[6:7], v[68:69]
	v_fma_f64 v[62:63], v[70:71], s[2:3], v[68:69]
	;; [unrolled: 1-line block ×3, first 2 shown]
	v_fma_f64 v[58:59], v[140:141], -0.5, v[148:149]
	v_add_f64 v[152:153], v[170:171], -v[40:41]
	v_fma_f64 v[136:137], v[138:139], s[6:7], v[136:137]
	v_add_f64 v[66:67], v[56:57], v[168:169]
	v_fma_f64 v[70:71], v[142:143], s[6:7], v[42:43]
	v_add_f64 v[56:57], v[170:171], v[40:41]
	;; [unrolled: 2-line block ×3, first 2 shown]
	v_add_f64 v[42:43], v[162:163], v[156:157]
	v_add_f64 v[50:51], v[48:49], v[166:167]
	v_fma_f64 v[148:149], v[152:153], s[2:3], v[58:59]
	v_fma_f64 v[152:153], v[152:153], s[6:7], v[58:59]
	v_add_f64 v[58:59], v[150:151], v[170:171]
	v_fma_f64 v[56:57], v[56:57], -0.5, v[150:151]
	v_add_f64 v[154:155], v[164:165], -v[160:161]
	v_add_f64 v[158:159], v[144:145], v[162:163]
	v_fma_f64 v[42:43], v[42:43], -0.5, v[144:145]
	v_add_f64 v[144:145], v[48:49], -v[166:167]
	;; [unrolled: 3-line block ×3, first 2 shown]
	v_add_f64 v[142:143], v[58:59], v[40:41]
	v_fma_f64 v[150:151], v[154:155], s[6:7], v[56:57]
	v_fma_f64 v[154:155], v[154:155], s[2:3], v[56:57]
	v_add_f64 v[40:41], v[158:159], v[156:157]
	v_fma_f64 v[48:49], v[144:145], s[2:3], v[42:43]
	v_fma_f64 v[56:57], v[144:145], s[6:7], v[42:43]
	;; [unrolled: 3-line block ×3, first 2 shown]
	s_barrier
	ds_write_b128 v202, v[44:47]
	ds_write_b128 v202, v[52:55] offset:160
	ds_write_b128 v202, v[60:63] offset:320
	ds_write_b128 v203, v[64:67]
	ds_write_b128 v203, v[68:71] offset:160
	ds_write_b128 v203, v[136:139] offset:320
	;; [unrolled: 3-line block ×3, first 2 shown]
	s_and_saveexec_b64 s[2:3], s[0:1]
	s_cbranch_execz .LBB0_17
; %bb.16:
	v_and_b32_e32 v44, 0xff, v198
	v_lshl_add_u32 v44, v44, 4, v197
	ds_write_b128 v44, v[40:43] offset:3840
	ds_write_b128 v44, v[48:51] offset:4000
	;; [unrolled: 1-line block ×3, first 2 shown]
.LBB0_17:
	s_or_b64 exec, exec, s[2:3]
	s_waitcnt lgkmcnt(0)
	s_barrier
	ds_read_b128 v[60:63], v196
	ds_read_b128 v[52:55], v196 offset:432
	ds_read_b128 v[140:143], v196 offset:2880
	;; [unrolled: 1-line block ×8, first 2 shown]
	s_and_saveexec_b64 s[2:3], s[0:1]
	s_cbranch_execz .LBB0_19
; %bb.18:
	ds_read_b128 v[40:43], v201 offset:1296
	ds_read_b128 v[48:51], v196 offset:2736
	ds_read_b128 v[56:59], v196 offset:4176
.LBB0_19:
	s_or_b64 exec, exec, s[2:3]
	s_waitcnt lgkmcnt(4)
	v_mul_f64 v[152:153], v[78:79], v[150:151]
	v_mul_f64 v[78:79], v[78:79], v[148:149]
	;; [unrolled: 1-line block ×4, first 2 shown]
	s_waitcnt lgkmcnt(2)
	v_mul_f64 v[156:157], v[94:95], v[146:147]
	v_mul_f64 v[94:95], v[94:95], v[144:145]
	v_mul_f64 v[158:159], v[90:91], v[70:71]
	v_mul_f64 v[90:91], v[90:91], v[68:69]
	v_fma_f64 v[148:149], v[76:77], v[148:149], v[152:153]
	v_fma_f64 v[76:77], v[76:77], v[150:151], -v[78:79]
	v_fma_f64 v[78:79], v[72:73], v[140:141], v[154:155]
	s_waitcnt lgkmcnt(1)
	v_mul_f64 v[140:141], v[102:103], v[138:139]
	v_fma_f64 v[72:73], v[72:73], v[142:143], -v[74:75]
	v_mul_f64 v[74:75], v[102:103], v[136:137]
	v_fma_f64 v[102:103], v[92:93], v[144:145], v[156:157]
	v_fma_f64 v[92:93], v[92:93], v[146:147], -v[94:95]
	v_fma_f64 v[68:69], v[88:89], v[68:69], v[158:159]
	s_waitcnt lgkmcnt(0)
	v_mul_f64 v[94:95], v[98:99], v[66:67]
	v_fma_f64 v[70:71], v[88:89], v[70:71], -v[90:91]
	v_mul_f64 v[88:89], v[98:99], v[64:65]
	v_fma_f64 v[90:91], v[100:101], v[136:137], v[140:141]
	v_fma_f64 v[98:99], v[100:101], v[138:139], -v[74:75]
	v_mul_f64 v[100:101], v[110:111], v[48:49]
	v_mul_f64 v[74:75], v[110:111], v[50:51]
	v_add_f64 v[110:111], v[148:149], v[78:79]
	v_fma_f64 v[94:95], v[96:97], v[64:65], v[94:95]
	v_mul_f64 v[64:65], v[106:107], v[58:59]
	v_mul_f64 v[106:107], v[106:107], v[56:57]
	v_fma_f64 v[96:97], v[96:97], v[66:67], -v[88:89]
	v_add_f64 v[66:67], v[60:61], v[148:149]
	v_fma_f64 v[50:51], v[108:109], v[50:51], -v[100:101]
	v_fma_f64 v[48:49], v[108:109], v[48:49], v[74:75]
	v_fma_f64 v[74:75], v[110:111], -0.5, v[60:61]
	v_add_f64 v[88:89], v[76:77], -v[72:73]
	v_fma_f64 v[100:101], v[104:105], v[56:57], v[64:65]
	v_fma_f64 v[104:105], v[104:105], v[58:59], -v[106:107]
	v_add_f64 v[58:59], v[76:77], v[72:73]
	v_add_f64 v[56:57], v[66:67], v[78:79]
	;; [unrolled: 1-line block ×4, first 2 shown]
	v_add_f64 v[78:79], v[148:149], -v[78:79]
	v_add_f64 v[108:109], v[90:91], v[94:95]
	s_mov_b32 s2, 0xe8584caa
	s_mov_b32 s3, 0xbfebb67a
	v_fma_f64 v[106:107], v[58:59], -0.5, v[62:63]
	s_mov_b32 s6, s2
	v_add_f64 v[58:59], v[66:67], v[72:73]
	v_add_f64 v[72:73], v[92:93], v[70:71]
	v_fma_f64 v[60:61], v[88:89], s[2:3], v[74:75]
	v_fma_f64 v[64:65], v[88:89], s[6:7], v[74:75]
	v_add_f64 v[74:75], v[52:53], v[102:103]
	v_fma_f64 v[76:77], v[76:77], -0.5, v[52:53]
	v_add_f64 v[88:89], v[92:93], -v[70:71]
	v_fma_f64 v[62:63], v[78:79], s[6:7], v[106:107]
	v_fma_f64 v[66:67], v[78:79], s[2:3], v[106:107]
	v_add_f64 v[78:79], v[54:55], v[92:93]
	v_fma_f64 v[92:93], v[72:73], -0.5, v[54:55]
	v_add_f64 v[102:103], v[102:103], -v[68:69]
	v_add_f64 v[106:107], v[44:45], v[90:91]
	v_fma_f64 v[44:45], v[108:109], -0.5, v[44:45]
	v_add_f64 v[108:109], v[98:99], -v[96:97]
	v_add_f64 v[52:53], v[74:75], v[68:69]
	v_fma_f64 v[68:69], v[88:89], s[2:3], v[76:77]
	v_fma_f64 v[72:73], v[88:89], s[6:7], v[76:77]
	v_add_f64 v[54:55], v[78:79], v[70:71]
	v_fma_f64 v[70:71], v[102:103], s[6:7], v[92:93]
	v_add_f64 v[78:79], v[98:99], v[96:97]
	;; [unrolled: 2-line block ×3, first 2 shown]
	v_fma_f64 v[88:89], v[108:109], s[2:3], v[44:45]
	v_fma_f64 v[92:93], v[108:109], s[6:7], v[44:45]
	v_add_f64 v[44:45], v[50:51], v[104:105]
	v_add_f64 v[76:77], v[106:107], v[94:95]
	;; [unrolled: 1-line block ×3, first 2 shown]
	v_fma_f64 v[46:47], v[78:79], -0.5, v[46:47]
	v_add_f64 v[94:95], v[90:91], -v[94:95]
	v_add_f64 v[106:107], v[40:41], v[48:49]
	v_fma_f64 v[102:103], v[102:103], -0.5, v[40:41]
	v_add_f64 v[108:109], v[50:51], -v[104:105]
	v_add_f64 v[50:51], v[42:43], v[50:51]
	;; [unrolled: 3-line block ×3, first 2 shown]
	v_fma_f64 v[90:91], v[94:95], s[6:7], v[46:47]
	v_fma_f64 v[94:95], v[94:95], s[2:3], v[46:47]
	v_add_f64 v[40:41], v[106:107], v[100:101]
	v_fma_f64 v[44:45], v[108:109], s[2:3], v[102:103]
	v_fma_f64 v[48:49], v[108:109], s[6:7], v[102:103]
	v_add_f64 v[42:43], v[50:51], v[104:105]
	v_fma_f64 v[46:47], v[136:137], s[6:7], v[110:111]
	v_fma_f64 v[50:51], v[136:137], s[2:3], v[110:111]
	s_barrier
	ds_write_b128 v196, v[56:59]
	ds_write_b128 v196, v[60:63] offset:480
	ds_write_b128 v196, v[64:67] offset:960
	ds_write_b128 v205, v[52:55]
	ds_write_b128 v205, v[68:71] offset:480
	ds_write_b128 v205, v[72:75] offset:960
	;; [unrolled: 3-line block ×3, first 2 shown]
	s_and_saveexec_b64 s[2:3], s[0:1]
	s_cbranch_execz .LBB0_21
; %bb.20:
	v_and_b32_e32 v52, 0xff, v200
	v_lshl_add_u32 v52, v52, 4, v197
	ds_write_b128 v52, v[40:43] offset:2880
	ds_write_b128 v52, v[44:47] offset:3360
	;; [unrolled: 1-line block ×3, first 2 shown]
.LBB0_21:
	s_or_b64 exec, exec, s[2:3]
	s_waitcnt lgkmcnt(0)
	s_barrier
	ds_read_b128 v[60:63], v196
	ds_read_b128 v[56:59], v196 offset:432
	ds_read_b128 v[88:91], v196 offset:2880
	;; [unrolled: 1-line block ×8, first 2 shown]
	v_add_u32_e32 v96, 0x360, v196
	s_and_saveexec_b64 s[2:3], s[0:1]
	s_cbranch_execz .LBB0_23
; %bb.22:
	ds_read_b128 v[40:43], v201 offset:1296
	ds_read_b128 v[44:47], v196 offset:2736
	;; [unrolled: 1-line block ×3, first 2 shown]
.LBB0_23:
	s_or_b64 exec, exec, s[2:3]
	s_waitcnt lgkmcnt(4)
	v_mul_f64 v[97:98], v[118:119], v[94:95]
	v_mul_f64 v[99:100], v[114:115], v[90:91]
	;; [unrolled: 1-line block ×4, first 2 shown]
	s_waitcnt lgkmcnt(2)
	v_mul_f64 v[105:106], v[130:131], v[78:79]
	v_mul_f64 v[109:110], v[122:123], v[70:71]
	;; [unrolled: 1-line block ×3, first 2 shown]
	s_waitcnt lgkmcnt(1)
	v_mul_f64 v[114:115], v[134:135], v[72:73]
	v_fma_f64 v[92:93], v[116:117], v[92:93], v[97:98]
	v_fma_f64 v[88:89], v[112:113], v[88:89], v[99:100]
	v_fma_f64 v[94:95], v[116:117], v[94:95], -v[101:102]
	v_fma_f64 v[90:91], v[112:113], v[90:91], -v[103:104]
	v_mul_f64 v[97:98], v[122:123], v[68:69]
	v_mul_f64 v[99:100], v[134:135], v[74:75]
	s_waitcnt lgkmcnt(0)
	v_mul_f64 v[122:123], v[126:127], v[64:65]
	v_fma_f64 v[103:104], v[128:129], v[76:77], v[105:106]
	v_fma_f64 v[105:106], v[120:121], v[68:69], v[109:110]
	v_mul_f64 v[118:119], v[126:127], v[66:67]
	v_add_f64 v[101:102], v[92:93], v[88:89]
	v_add_f64 v[68:69], v[60:61], v[92:93]
	;; [unrolled: 1-line block ×3, first 2 shown]
	v_fma_f64 v[78:79], v[128:129], v[78:79], -v[107:108]
	v_fma_f64 v[97:98], v[120:121], v[70:71], -v[97:98]
	v_fma_f64 v[99:100], v[132:133], v[72:73], v[99:100]
	v_add_f64 v[72:73], v[94:95], -v[90:91]
	v_add_f64 v[94:95], v[62:63], v[94:95]
	v_fma_f64 v[107:108], v[124:125], v[66:67], -v[122:123]
	v_add_f64 v[66:67], v[103:104], v[105:106]
	v_fma_f64 v[74:75], v[132:133], v[74:75], -v[114:115]
	v_fma_f64 v[70:71], v[101:102], -0.5, v[60:61]
	v_fma_f64 v[101:102], v[124:125], v[64:65], v[118:119]
	v_add_f64 v[60:61], v[68:69], v[88:89]
	v_fma_f64 v[76:77], v[76:77], -0.5, v[62:63]
	v_add_f64 v[88:89], v[92:93], -v[88:89]
	v_add_f64 v[92:93], v[56:57], v[103:104]
	v_add_f64 v[62:63], v[94:95], v[90:91]
	;; [unrolled: 1-line block ×3, first 2 shown]
	s_mov_b32 s2, 0xe8584caa
	s_mov_b32 s3, 0xbfebb67a
	;; [unrolled: 1-line block ×3, first 2 shown]
	v_fma_f64 v[109:110], v[66:67], -0.5, v[56:57]
	v_add_f64 v[111:112], v[78:79], -v[97:98]
	v_fma_f64 v[64:65], v[72:73], s[2:3], v[70:71]
	v_fma_f64 v[68:69], v[72:73], s[6:7], v[70:71]
	;; [unrolled: 1-line block ×4, first 2 shown]
	v_add_f64 v[56:57], v[92:93], v[105:106]
	v_add_f64 v[88:89], v[99:100], v[101:102]
	;; [unrolled: 1-line block ×4, first 2 shown]
	v_fma_f64 v[90:91], v[90:91], -0.5, v[58:59]
	v_add_f64 v[94:95], v[103:104], -v[105:106]
	v_fma_f64 v[72:73], v[111:112], s[2:3], v[109:110]
	v_fma_f64 v[76:77], v[111:112], s[6:7], v[109:110]
	v_add_f64 v[103:104], v[52:53], v[99:100]
	v_add_f64 v[111:112], v[54:55], v[74:75]
	v_fma_f64 v[105:106], v[88:89], -0.5, v[52:53]
	v_add_f64 v[109:110], v[74:75], -v[107:108]
	v_fma_f64 v[113:114], v[92:93], -0.5, v[54:55]
	v_add_f64 v[99:100], v[99:100], -v[101:102]
	v_add_f64 v[58:59], v[78:79], v[97:98]
	v_fma_f64 v[74:75], v[94:95], s[6:7], v[90:91]
	v_fma_f64 v[78:79], v[94:95], s[2:3], v[90:91]
	v_add_f64 v[52:53], v[103:104], v[101:102]
	v_add_f64 v[54:55], v[111:112], v[107:108]
	v_fma_f64 v[88:89], v[109:110], s[2:3], v[105:106]
	v_fma_f64 v[92:93], v[109:110], s[6:7], v[105:106]
	;; [unrolled: 1-line block ×4, first 2 shown]
	ds_write_b128 v196, v[60:63]
	ds_write_b128 v201, v[64:67] offset:1440
	ds_write_b128 v201, v[68:71] offset:2880
	;; [unrolled: 1-line block ×8, first 2 shown]
	s_and_saveexec_b64 s[12:13], s[0:1]
	s_cbranch_execz .LBB0_25
; %bb.24:
	v_mul_f64 v[52:53], v[86:87], v[44:45]
	v_mul_f64 v[54:55], v[82:83], v[48:49]
	;; [unrolled: 1-line block ×4, first 2 shown]
	v_fma_f64 v[46:47], v[84:85], v[46:47], -v[52:53]
	v_fma_f64 v[50:51], v[80:81], v[50:51], -v[54:55]
	v_fma_f64 v[44:45], v[84:85], v[44:45], v[56:57]
	v_fma_f64 v[48:49], v[80:81], v[48:49], v[58:59]
	v_add_f64 v[58:59], v[42:43], v[46:47]
	v_add_f64 v[52:53], v[46:47], v[50:51]
	v_add_f64 v[60:61], v[46:47], -v[50:51]
	v_add_f64 v[54:55], v[44:45], v[48:49]
	v_add_f64 v[56:57], v[44:45], -v[48:49]
	v_add_f64 v[44:45], v[40:41], v[44:45]
	v_fma_f64 v[52:53], v[52:53], -0.5, v[42:43]
	v_add_f64 v[42:43], v[58:59], v[50:51]
	v_fma_f64 v[54:55], v[54:55], -0.5, v[40:41]
	v_add_f64 v[40:41], v[44:45], v[48:49]
	v_fma_f64 v[50:51], v[56:57], s[6:7], v[52:53]
	v_fma_f64 v[46:47], v[56:57], s[2:3], v[52:53]
	;; [unrolled: 1-line block ×4, first 2 shown]
	ds_write_b128 v201, v[40:43] offset:1296
	ds_write_b128 v201, v[48:51] offset:2736
	;; [unrolled: 1-line block ×3, first 2 shown]
.LBB0_25:
	s_or_b64 exec, exec, s[12:13]
	s_waitcnt lgkmcnt(0)
	s_barrier
	ds_read_b128 v[40:43], v196
	ds_read_b128 v[44:47], v196 offset:432
	v_mad_u64_u32 v[48:49], s[0:1], s10, v184, 0
	s_mul_i32 s2, s9, 0x1b0
	s_waitcnt lgkmcnt(1)
	v_mul_f64 v[50:51], v[38:39], v[42:43]
	v_mul_f64 v[38:39], v[38:39], v[40:41]
	s_mul_hi_u32 s3, s8, 0x1b0
	s_add_i32 s2, s3, s2
	s_mul_i32 s3, s8, 0x1b0
	v_mad_u64_u32 v[52:53], s[0:1], s11, v184, v[49:50]
	v_mad_u64_u32 v[53:54], s[0:1], s8, v195, 0
	v_fma_f64 v[40:41], v[36:37], v[40:41], v[50:51]
	v_fma_f64 v[38:39], v[36:37], v[42:43], -v[38:39]
	v_mov_b32_e32 v36, v54
	v_mad_u64_u32 v[42:43], s[0:1], s9, v195, v[36:37]
	s_mov_b32 s0, 0xc901e574
	s_mov_b32 s1, 0x3f6e573a
	v_mov_b32_e32 v54, v42
	s_waitcnt lgkmcnt(0)
	v_mul_f64 v[42:43], v[34:35], v[46:47]
	v_mul_f64 v[34:35], v[34:35], v[44:45]
	v_mov_b32_e32 v49, v52
	v_mul_f64 v[36:37], v[40:41], s[0:1]
	v_mul_f64 v[38:39], v[38:39], s[0:1]
	v_lshlrev_b64 v[40:41], 4, v[48:49]
	v_mov_b32_e32 v48, s5
	v_add_co_u32_e32 v49, vcc, s4, v40
	v_fma_f64 v[42:43], v[32:33], v[44:45], v[42:43]
	v_fma_f64 v[44:45], v[32:33], v[46:47], -v[34:35]
	ds_read_b128 v[32:35], v196 offset:864
	v_addc_co_u32_e32 v50, vcc, v48, v41, vcc
	v_lshlrev_b64 v[40:41], 4, v[53:54]
	v_mov_b32_e32 v52, s2
	v_add_co_u32_e32 v48, vcc, v49, v40
	v_addc_co_u32_e32 v49, vcc, v50, v41, vcc
	global_store_dwordx4 v[48:49], v[36:39], off
	v_add_co_u32_e32 v48, vcc, s3, v48
	v_mul_f64 v[36:37], v[42:43], s[0:1]
	ds_read_b128 v[40:43], v196 offset:1728
	s_waitcnt lgkmcnt(1)
	v_mul_f64 v[50:51], v[30:31], v[34:35]
	v_mul_f64 v[30:31], v[30:31], v[32:33]
	;; [unrolled: 1-line block ×3, first 2 shown]
	ds_read_b128 v[44:47], v201 offset:1296
	v_addc_co_u32_e32 v49, vcc, v49, v52, vcc
	v_fma_f64 v[32:33], v[28:29], v[32:33], v[50:51]
	v_fma_f64 v[34:35], v[28:29], v[34:35], -v[30:31]
	ds_read_b128 v[28:31], v196 offset:3888
	s_waitcnt lgkmcnt(1)
	v_mul_f64 v[50:51], v[2:3], v[46:47]
	v_mul_f64 v[2:3], v[2:3], v[44:45]
	global_store_dwordx4 v[48:49], v[36:39], off
	v_mul_f64 v[32:33], v[32:33], s[0:1]
	v_mul_f64 v[34:35], v[34:35], s[0:1]
	;; [unrolled: 1-line block ×3, first 2 shown]
	v_fma_f64 v[36:37], v[0:1], v[44:45], v[50:51]
	v_fma_f64 v[2:3], v[0:1], v[46:47], -v[2:3]
	v_mul_f64 v[10:11], v[10:11], v[40:41]
	v_add_co_u32_e32 v44, vcc, s3, v48
	v_addc_co_u32_e32 v45, vcc, v49, v52, vcc
	global_store_dwordx4 v[44:45], v[32:35], off
	ds_read_b128 v[32:35], v196 offset:2160
	v_mul_f64 v[0:1], v[36:37], s[0:1]
	v_mul_f64 v[2:3], v[2:3], s[0:1]
	v_fma_f64 v[36:37], v[8:9], v[40:41], v[38:39]
	v_fma_f64 v[38:39], v[8:9], v[42:43], -v[10:11]
	ds_read_b128 v[8:11], v196 offset:2592
	s_waitcnt lgkmcnt(1)
	v_mul_f64 v[40:41], v[6:7], v[34:35]
	v_mul_f64 v[6:7], v[6:7], v[32:33]
	v_mov_b32_e32 v46, s2
	v_add_co_u32_e32 v42, vcc, s3, v44
	v_addc_co_u32_e32 v43, vcc, v45, v46, vcc
	global_store_dwordx4 v[42:43], v[0:3], off
	v_fma_f64 v[32:33], v[4:5], v[32:33], v[40:41]
	v_mul_f64 v[0:1], v[36:37], s[0:1]
	v_mul_f64 v[2:3], v[38:39], s[0:1]
	v_fma_f64 v[4:5], v[4:5], v[34:35], -v[6:7]
	s_waitcnt lgkmcnt(0)
	v_mul_f64 v[34:35], v[18:19], v[10:11]
	v_mul_f64 v[18:19], v[18:19], v[8:9]
	v_mov_b32_e32 v37, s2
	v_add_co_u32_e32 v36, vcc, s3, v42
	v_addc_co_u32_e32 v37, vcc, v43, v37, vcc
	global_store_dwordx4 v[36:37], v[0:3], off
	v_mov_b32_e32 v38, s2
	v_mul_f64 v[2:3], v[4:5], s[0:1]
	ds_read_b128 v[4:7], v196 offset:3024
	v_mul_f64 v[0:1], v[32:33], s[0:1]
	v_fma_f64 v[32:33], v[16:17], v[8:9], v[34:35]
	v_fma_f64 v[16:17], v[16:17], v[10:11], -v[18:19]
	ds_read_b128 v[8:11], v196 offset:3456
	s_waitcnt lgkmcnt(1)
	v_mul_f64 v[18:19], v[14:15], v[6:7]
	v_mul_f64 v[14:15], v[14:15], v[4:5]
	v_add_co_u32_e32 v34, vcc, s3, v36
	v_addc_co_u32_e32 v35, vcc, v37, v38, vcc
	global_store_dwordx4 v[34:35], v[0:3], off
	v_fma_f64 v[4:5], v[12:13], v[4:5], v[18:19]
	v_mul_f64 v[2:3], v[16:17], s[0:1]
	v_mov_b32_e32 v16, s2
	v_fma_f64 v[6:7], v[12:13], v[6:7], -v[14:15]
	v_add_co_u32_e32 v12, vcc, s3, v34
	v_mul_f64 v[0:1], v[32:33], s[0:1]
	v_addc_co_u32_e32 v13, vcc, v35, v16, vcc
	s_waitcnt lgkmcnt(0)
	v_mul_f64 v[14:15], v[22:23], v[10:11]
	v_mul_f64 v[16:17], v[22:23], v[8:9]
	;; [unrolled: 1-line block ×4, first 2 shown]
	v_mov_b32_e32 v26, s2
	global_store_dwordx4 v[12:13], v[0:3], off
	v_add_co_u32_e32 v12, vcc, s3, v12
	v_mul_f64 v[0:1], v[4:5], s[0:1]
	v_mul_f64 v[2:3], v[6:7], s[0:1]
	v_fma_f64 v[4:5], v[20:21], v[8:9], v[14:15]
	v_fma_f64 v[6:7], v[20:21], v[10:11], -v[16:17]
	v_fma_f64 v[8:9], v[24:25], v[28:29], v[18:19]
	v_fma_f64 v[10:11], v[24:25], v[30:31], -v[22:23]
	v_addc_co_u32_e32 v13, vcc, v13, v26, vcc
	v_mov_b32_e32 v14, s2
	global_store_dwordx4 v[12:13], v[0:3], off
	s_nop 0
	v_mul_f64 v[0:1], v[4:5], s[0:1]
	v_mul_f64 v[2:3], v[6:7], s[0:1]
	;; [unrolled: 1-line block ×4, first 2 shown]
	v_add_co_u32_e32 v8, vcc, s3, v12
	v_addc_co_u32_e32 v9, vcc, v13, v14, vcc
	global_store_dwordx4 v[8:9], v[0:3], off
	s_nop 0
	v_mov_b32_e32 v1, s2
	v_add_co_u32_e32 v0, vcc, s3, v8
	v_addc_co_u32_e32 v1, vcc, v9, v1, vcc
	global_store_dwordx4 v[0:1], v[4:7], off
.LBB0_26:
	s_endpgm
	.section	.rodata,"a",@progbits
	.p2align	6, 0x0
	.amdhsa_kernel bluestein_single_fwd_len270_dim1_dp_op_CI_CI
		.amdhsa_group_segment_fixed_size 17280
		.amdhsa_private_segment_fixed_size 0
		.amdhsa_kernarg_size 104
		.amdhsa_user_sgpr_count 6
		.amdhsa_user_sgpr_private_segment_buffer 1
		.amdhsa_user_sgpr_dispatch_ptr 0
		.amdhsa_user_sgpr_queue_ptr 0
		.amdhsa_user_sgpr_kernarg_segment_ptr 1
		.amdhsa_user_sgpr_dispatch_id 0
		.amdhsa_user_sgpr_flat_scratch_init 0
		.amdhsa_user_sgpr_private_segment_size 0
		.amdhsa_uses_dynamic_stack 0
		.amdhsa_system_sgpr_private_segment_wavefront_offset 0
		.amdhsa_system_sgpr_workgroup_id_x 1
		.amdhsa_system_sgpr_workgroup_id_y 0
		.amdhsa_system_sgpr_workgroup_id_z 0
		.amdhsa_system_sgpr_workgroup_info 0
		.amdhsa_system_vgpr_workitem_id 0
		.amdhsa_next_free_vgpr 231
		.amdhsa_next_free_sgpr 22
		.amdhsa_reserve_vcc 1
		.amdhsa_reserve_flat_scratch 0
		.amdhsa_float_round_mode_32 0
		.amdhsa_float_round_mode_16_64 0
		.amdhsa_float_denorm_mode_32 3
		.amdhsa_float_denorm_mode_16_64 3
		.amdhsa_dx10_clamp 1
		.amdhsa_ieee_mode 1
		.amdhsa_fp16_overflow 0
		.amdhsa_exception_fp_ieee_invalid_op 0
		.amdhsa_exception_fp_denorm_src 0
		.amdhsa_exception_fp_ieee_div_zero 0
		.amdhsa_exception_fp_ieee_overflow 0
		.amdhsa_exception_fp_ieee_underflow 0
		.amdhsa_exception_fp_ieee_inexact 0
		.amdhsa_exception_int_div_zero 0
	.end_amdhsa_kernel
	.text
.Lfunc_end0:
	.size	bluestein_single_fwd_len270_dim1_dp_op_CI_CI, .Lfunc_end0-bluestein_single_fwd_len270_dim1_dp_op_CI_CI
                                        ; -- End function
	.section	.AMDGPU.csdata,"",@progbits
; Kernel info:
; codeLenInByte = 12072
; NumSgprs: 26
; NumVgprs: 231
; ScratchSize: 0
; MemoryBound: 0
; FloatMode: 240
; IeeeMode: 1
; LDSByteSize: 17280 bytes/workgroup (compile time only)
; SGPRBlocks: 3
; VGPRBlocks: 57
; NumSGPRsForWavesPerEU: 26
; NumVGPRsForWavesPerEU: 231
; Occupancy: 1
; WaveLimiterHint : 1
; COMPUTE_PGM_RSRC2:SCRATCH_EN: 0
; COMPUTE_PGM_RSRC2:USER_SGPR: 6
; COMPUTE_PGM_RSRC2:TRAP_HANDLER: 0
; COMPUTE_PGM_RSRC2:TGID_X_EN: 1
; COMPUTE_PGM_RSRC2:TGID_Y_EN: 0
; COMPUTE_PGM_RSRC2:TGID_Z_EN: 0
; COMPUTE_PGM_RSRC2:TIDIG_COMP_CNT: 0
	.type	__hip_cuid_f29162e117474175,@object ; @__hip_cuid_f29162e117474175
	.section	.bss,"aw",@nobits
	.globl	__hip_cuid_f29162e117474175
__hip_cuid_f29162e117474175:
	.byte	0                               ; 0x0
	.size	__hip_cuid_f29162e117474175, 1

	.ident	"AMD clang version 19.0.0git (https://github.com/RadeonOpenCompute/llvm-project roc-6.4.0 25133 c7fe45cf4b819c5991fe208aaa96edf142730f1d)"
	.section	".note.GNU-stack","",@progbits
	.addrsig
	.addrsig_sym __hip_cuid_f29162e117474175
	.amdgpu_metadata
---
amdhsa.kernels:
  - .args:
      - .actual_access:  read_only
        .address_space:  global
        .offset:         0
        .size:           8
        .value_kind:     global_buffer
      - .actual_access:  read_only
        .address_space:  global
        .offset:         8
        .size:           8
        .value_kind:     global_buffer
      - .actual_access:  read_only
        .address_space:  global
        .offset:         16
        .size:           8
        .value_kind:     global_buffer
      - .actual_access:  read_only
        .address_space:  global
        .offset:         24
        .size:           8
        .value_kind:     global_buffer
      - .actual_access:  read_only
        .address_space:  global
        .offset:         32
        .size:           8
        .value_kind:     global_buffer
      - .offset:         40
        .size:           8
        .value_kind:     by_value
      - .address_space:  global
        .offset:         48
        .size:           8
        .value_kind:     global_buffer
      - .address_space:  global
        .offset:         56
        .size:           8
        .value_kind:     global_buffer
      - .address_space:  global
        .offset:         64
        .size:           8
        .value_kind:     global_buffer
      - .address_space:  global
        .offset:         72
        .size:           8
        .value_kind:     global_buffer
      - .offset:         80
        .size:           4
        .value_kind:     by_value
      - .address_space:  global
        .offset:         88
        .size:           8
        .value_kind:     global_buffer
      - .address_space:  global
        .offset:         96
        .size:           8
        .value_kind:     global_buffer
    .group_segment_fixed_size: 17280
    .kernarg_segment_align: 8
    .kernarg_segment_size: 104
    .language:       OpenCL C
    .language_version:
      - 2
      - 0
    .max_flat_workgroup_size: 108
    .name:           bluestein_single_fwd_len270_dim1_dp_op_CI_CI
    .private_segment_fixed_size: 0
    .sgpr_count:     26
    .sgpr_spill_count: 0
    .symbol:         bluestein_single_fwd_len270_dim1_dp_op_CI_CI.kd
    .uniform_work_group_size: 1
    .uses_dynamic_stack: false
    .vgpr_count:     231
    .vgpr_spill_count: 0
    .wavefront_size: 64
amdhsa.target:   amdgcn-amd-amdhsa--gfx906
amdhsa.version:
  - 1
  - 2
...

	.end_amdgpu_metadata
